;; amdgpu-corpus repo=ROCm/rocFFT kind=compiled arch=gfx906 opt=O3
	.text
	.amdgcn_target "amdgcn-amd-amdhsa--gfx906"
	.amdhsa_code_object_version 6
	.protected	fft_rtc_fwd_len121_factors_11_11_wgs_121_tpt_11_sp_ip_CI_sbcc_twdbase8_3step_dirReg_intrinsicRead ; -- Begin function fft_rtc_fwd_len121_factors_11_11_wgs_121_tpt_11_sp_ip_CI_sbcc_twdbase8_3step_dirReg_intrinsicRead
	.globl	fft_rtc_fwd_len121_factors_11_11_wgs_121_tpt_11_sp_ip_CI_sbcc_twdbase8_3step_dirReg_intrinsicRead
	.p2align	8
	.type	fft_rtc_fwd_len121_factors_11_11_wgs_121_tpt_11_sp_ip_CI_sbcc_twdbase8_3step_dirReg_intrinsicRead,@function
fft_rtc_fwd_len121_factors_11_11_wgs_121_tpt_11_sp_ip_CI_sbcc_twdbase8_3step_dirReg_intrinsicRead: ; @fft_rtc_fwd_len121_factors_11_11_wgs_121_tpt_11_sp_ip_CI_sbcc_twdbase8_3step_dirReg_intrinsicRead
; %bb.0:
	s_load_dwordx4 s[0:3], s[4:5], 0x18
	s_mov_b32 s7, 0
	s_mov_b64 s[24:25], 0
	s_waitcnt lgkmcnt(0)
	s_load_dwordx2 s[14:15], s[0:1], 0x8
	s_waitcnt lgkmcnt(0)
	s_add_u32 s8, s14, -1
	s_addc_u32 s9, s15, -1
	s_add_u32 s10, 0, 0x5d161400
	s_addc_u32 s11, 0, 0x54
	s_mul_hi_u32 s13, s10, -11
	s_add_i32 s11, s11, 0x1745d120
	s_sub_i32 s13, s13, s10
	s_mul_i32 s18, s11, -11
	s_mul_i32 s12, s10, -11
	s_add_i32 s13, s13, s18
	s_mul_hi_u32 s16, s11, s12
	s_mul_i32 s17, s11, s12
	s_mul_i32 s19, s10, s13
	s_mul_hi_u32 s12, s10, s12
	s_mul_hi_u32 s18, s10, s13
	s_add_u32 s12, s12, s19
	s_addc_u32 s18, 0, s18
	s_add_u32 s12, s12, s17
	s_mul_hi_u32 s19, s11, s13
	s_addc_u32 s12, s18, s16
	s_addc_u32 s16, s19, 0
	s_mul_i32 s13, s11, s13
	s_add_u32 s12, s12, s13
	v_mov_b32_e32 v1, s12
	s_addc_u32 s13, 0, s16
	v_add_co_u32_e32 v1, vcc, s10, v1
	s_cmp_lg_u64 vcc, 0
	s_addc_u32 s10, s11, s13
	v_readfirstlane_b32 s13, v1
	s_mul_i32 s12, s8, s10
	s_mul_hi_u32 s16, s8, s13
	s_mul_hi_u32 s11, s8, s10
	s_add_u32 s12, s16, s12
	s_addc_u32 s11, 0, s11
	s_mul_hi_u32 s17, s9, s13
	s_mul_i32 s13, s9, s13
	s_add_u32 s12, s12, s13
	s_mul_hi_u32 s16, s9, s10
	s_addc_u32 s11, s11, s17
	s_addc_u32 s12, s16, 0
	s_mul_i32 s10, s9, s10
	s_add_u32 s10, s11, s10
	s_addc_u32 s11, 0, s12
	s_add_u32 s12, s10, 1
	s_addc_u32 s13, s11, 0
	s_add_u32 s16, s10, 2
	s_mul_i32 s18, s11, 11
	s_mul_hi_u32 s19, s10, 11
	s_addc_u32 s17, s11, 0
	s_add_i32 s19, s19, s18
	s_mul_i32 s18, s10, 11
	v_mov_b32_e32 v1, s18
	v_sub_co_u32_e32 v1, vcc, s8, v1
	s_cmp_lg_u64 vcc, 0
	s_subb_u32 s8, s9, s19
	v_subrev_co_u32_e32 v2, vcc, 11, v1
	s_cmp_lg_u64 vcc, 0
	s_subb_u32 s9, s8, 0
	v_readfirstlane_b32 s18, v2
	s_cmp_gt_u32 s18, 10
	s_cselect_b32 s18, -1, 0
	s_cmp_eq_u32 s9, 0
	s_cselect_b32 s9, s18, -1
	s_cmp_lg_u32 s9, 0
	s_cselect_b32 s9, s16, s12
	s_cselect_b32 s12, s17, s13
	v_readfirstlane_b32 s13, v1
	s_cmp_gt_u32 s13, 10
	s_cselect_b32 s13, -1, 0
	s_cmp_eq_u32 s8, 0
	s_cselect_b32 s8, s13, -1
	s_cmp_lg_u32 s8, 0
	s_cselect_b32 s9, s9, s10
	s_cselect_b32 s8, s12, s11
	s_add_u32 s22, s9, 1
	s_addc_u32 s23, s8, 0
	v_mov_b32_e32 v1, s22
	v_mov_b32_e32 v2, s23
	v_cmp_lt_u64_e32 vcc, s[6:7], v[1:2]
	s_cbranch_vccnz .LBB0_2
; %bb.1:
	v_cvt_f32_u32_e32 v1, s22
	s_sub_i32 s8, 0, s22
	s_mov_b32 s25, s7
	v_rcp_iflag_f32_e32 v1, v1
	v_mul_f32_e32 v1, 0x4f7ffffe, v1
	v_cvt_u32_f32_e32 v1, v1
	v_readfirstlane_b32 s9, v1
	s_mul_i32 s8, s8, s9
	s_mul_hi_u32 s8, s9, s8
	s_add_i32 s9, s9, s8
	s_mul_hi_u32 s8, s6, s9
	s_mul_i32 s10, s8, s22
	s_sub_i32 s10, s6, s10
	s_add_i32 s9, s8, 1
	s_sub_i32 s11, s10, s22
	s_cmp_ge_u32 s10, s22
	s_cselect_b32 s8, s9, s8
	s_cselect_b32 s10, s11, s10
	s_add_i32 s9, s8, 1
	s_cmp_ge_u32 s10, s22
	s_cselect_b32 s24, s9, s8
.LBB0_2:
	s_load_dwordx2 s[12:13], s[4:5], 0x58
	s_load_dwordx4 s[8:11], s[2:3], 0x0
	s_load_dwordx2 s[20:21], s[4:5], 0x0
	s_load_dwordx4 s[16:19], s[4:5], 0x8
	s_mul_i32 s4, s24, s23
	s_mul_hi_u32 s5, s24, s22
	s_add_i32 s5, s5, s4
	s_mul_i32 s4, s24, s22
	s_sub_u32 s38, s6, s4
	s_subb_u32 s4, 0, s5
	s_mul_i32 s4, s4, 11
	s_mul_hi_u32 s33, s38, 11
	s_add_i32 s33, s33, s4
	s_mul_i32 s38, s38, 11
	s_waitcnt lgkmcnt(0)
	s_mul_i32 s4, s10, s33
	s_mul_hi_u32 s5, s10, s38
	s_add_i32 s4, s5, s4
	s_mul_i32 s5, s11, s38
	s_add_i32 s39, s4, s5
	v_cmp_lt_u64_e64 s[4:5], s[18:19], 3
	s_mul_i32 s40, s10, s38
	s_and_b64 vcc, exec, s[4:5]
	s_cbranch_vccnz .LBB0_12
; %bb.3:
	s_add_u32 s4, s2, 16
	s_addc_u32 s5, s3, 0
	s_add_u32 s26, s0, 16
	v_mov_b32_e32 v1, s18
	s_addc_u32 s27, s1, 0
	s_mov_b64 s[28:29], 2
	s_mov_b32 s30, 0
	v_mov_b32_e32 v2, s19
.LBB0_4:                                ; =>This Inner Loop Header: Depth=1
	s_load_dwordx2 s[34:35], s[26:27], 0x0
	s_waitcnt lgkmcnt(0)
	s_or_b64 s[0:1], s[24:25], s[34:35]
	s_mov_b32 s31, s1
	s_cmp_lg_u64 s[30:31], 0
	s_cbranch_scc0 .LBB0_9
; %bb.5:                                ;   in Loop: Header=BB0_4 Depth=1
	v_cvt_f32_u32_e32 v3, s34
	v_cvt_f32_u32_e32 v4, s35
	s_sub_u32 s0, 0, s34
	s_subb_u32 s1, 0, s35
	v_mac_f32_e32 v3, 0x4f800000, v4
	v_rcp_f32_e32 v3, v3
	v_mul_f32_e32 v3, 0x5f7ffffc, v3
	v_mul_f32_e32 v4, 0x2f800000, v3
	v_trunc_f32_e32 v4, v4
	v_mac_f32_e32 v3, 0xcf800000, v4
	v_cvt_u32_f32_e32 v4, v4
	v_cvt_u32_f32_e32 v3, v3
	v_readfirstlane_b32 s31, v4
	v_readfirstlane_b32 s36, v3
	s_mul_i32 s37, s0, s31
	s_mul_hi_u32 s42, s0, s36
	s_mul_i32 s41, s1, s36
	s_add_i32 s37, s42, s37
	s_mul_i32 s43, s0, s36
	s_add_i32 s37, s37, s41
	s_mul_hi_u32 s41, s36, s37
	s_mul_i32 s42, s36, s37
	s_mul_hi_u32 s36, s36, s43
	s_add_u32 s36, s36, s42
	s_addc_u32 s41, 0, s41
	s_mul_hi_u32 s44, s31, s43
	s_mul_i32 s43, s31, s43
	s_add_u32 s36, s36, s43
	s_mul_hi_u32 s42, s31, s37
	s_addc_u32 s36, s41, s44
	s_addc_u32 s41, s42, 0
	s_mul_i32 s37, s31, s37
	s_add_u32 s36, s36, s37
	s_addc_u32 s37, 0, s41
	v_add_co_u32_e32 v3, vcc, s36, v3
	s_cmp_lg_u64 vcc, 0
	s_addc_u32 s31, s31, s37
	v_readfirstlane_b32 s37, v3
	s_mul_i32 s36, s0, s31
	s_mul_hi_u32 s41, s0, s37
	s_add_i32 s36, s41, s36
	s_mul_i32 s1, s1, s37
	s_add_i32 s36, s36, s1
	s_mul_i32 s0, s0, s37
	s_mul_hi_u32 s41, s31, s0
	s_mul_i32 s42, s31, s0
	s_mul_i32 s44, s37, s36
	s_mul_hi_u32 s0, s37, s0
	s_mul_hi_u32 s43, s37, s36
	s_add_u32 s0, s0, s44
	s_addc_u32 s37, 0, s43
	s_add_u32 s0, s0, s42
	s_mul_hi_u32 s1, s31, s36
	s_addc_u32 s0, s37, s41
	s_addc_u32 s1, s1, 0
	s_mul_i32 s36, s31, s36
	s_add_u32 s0, s0, s36
	s_addc_u32 s1, 0, s1
	v_add_co_u32_e32 v3, vcc, s0, v3
	s_cmp_lg_u64 vcc, 0
	s_addc_u32 s0, s31, s1
	v_readfirstlane_b32 s36, v3
	s_mul_i32 s31, s24, s0
	s_mul_hi_u32 s37, s24, s36
	s_mul_hi_u32 s1, s24, s0
	s_add_u32 s31, s37, s31
	s_addc_u32 s1, 0, s1
	s_mul_hi_u32 s41, s25, s36
	s_mul_i32 s36, s25, s36
	s_add_u32 s31, s31, s36
	s_mul_hi_u32 s37, s25, s0
	s_addc_u32 s1, s1, s41
	s_addc_u32 s31, s37, 0
	s_mul_i32 s0, s25, s0
	s_add_u32 s36, s1, s0
	s_addc_u32 s31, 0, s31
	s_mul_i32 s0, s34, s31
	s_mul_hi_u32 s1, s34, s36
	s_add_i32 s0, s1, s0
	s_mul_i32 s1, s35, s36
	s_add_i32 s37, s0, s1
	s_mul_i32 s1, s34, s36
	v_mov_b32_e32 v3, s1
	s_sub_i32 s0, s25, s37
	v_sub_co_u32_e32 v3, vcc, s24, v3
	s_cmp_lg_u64 vcc, 0
	s_subb_u32 s41, s0, s35
	v_subrev_co_u32_e64 v4, s[0:1], s34, v3
	s_cmp_lg_u64 s[0:1], 0
	s_subb_u32 s0, s41, 0
	s_cmp_ge_u32 s0, s35
	v_readfirstlane_b32 s41, v4
	s_cselect_b32 s1, -1, 0
	s_cmp_ge_u32 s41, s34
	s_cselect_b32 s41, -1, 0
	s_cmp_eq_u32 s0, s35
	s_cselect_b32 s0, s41, s1
	s_add_u32 s1, s36, 1
	s_addc_u32 s41, s31, 0
	s_add_u32 s42, s36, 2
	s_addc_u32 s43, s31, 0
	s_cmp_lg_u32 s0, 0
	s_cselect_b32 s0, s42, s1
	s_cselect_b32 s1, s43, s41
	s_cmp_lg_u64 vcc, 0
	s_subb_u32 s37, s25, s37
	s_cmp_ge_u32 s37, s35
	v_readfirstlane_b32 s42, v3
	s_cselect_b32 s41, -1, 0
	s_cmp_ge_u32 s42, s34
	s_cselect_b32 s42, -1, 0
	s_cmp_eq_u32 s37, s35
	s_cselect_b32 s37, s42, s41
	s_cmp_lg_u32 s37, 0
	s_cselect_b32 s1, s1, s31
	s_cselect_b32 s0, s0, s36
	s_cbranch_execnz .LBB0_7
.LBB0_6:                                ;   in Loop: Header=BB0_4 Depth=1
	v_cvt_f32_u32_e32 v3, s34
	s_sub_i32 s0, 0, s34
	v_rcp_iflag_f32_e32 v3, v3
	v_mul_f32_e32 v3, 0x4f7ffffe, v3
	v_cvt_u32_f32_e32 v3, v3
	v_readfirstlane_b32 s1, v3
	s_mul_i32 s0, s0, s1
	s_mul_hi_u32 s0, s1, s0
	s_add_i32 s1, s1, s0
	s_mul_hi_u32 s0, s24, s1
	s_mul_i32 s31, s0, s34
	s_sub_i32 s31, s24, s31
	s_add_i32 s1, s0, 1
	s_sub_i32 s36, s31, s34
	s_cmp_ge_u32 s31, s34
	s_cselect_b32 s0, s1, s0
	s_cselect_b32 s31, s36, s31
	s_add_i32 s1, s0, 1
	s_cmp_ge_u32 s31, s34
	s_cselect_b32 s0, s1, s0
	s_mov_b32 s1, s30
.LBB0_7:                                ;   in Loop: Header=BB0_4 Depth=1
	s_mul_i32 s23, s34, s23
	s_mul_hi_u32 s31, s34, s22
	s_add_i32 s23, s31, s23
	s_mul_i32 s31, s35, s22
	s_add_i32 s23, s23, s31
	s_mul_i32 s31, s0, s35
	s_mul_hi_u32 s35, s0, s34
	s_load_dwordx2 s[36:37], s[4:5], 0x0
	s_add_i32 s31, s35, s31
	s_mul_i32 s35, s1, s34
	s_mul_i32 s22, s34, s22
	s_add_i32 s31, s31, s35
	s_mul_i32 s34, s0, s34
	s_sub_u32 s24, s24, s34
	s_subb_u32 s25, s25, s31
	s_waitcnt lgkmcnt(0)
	s_mul_i32 s25, s36, s25
	s_mul_hi_u32 s31, s36, s24
	s_add_i32 s25, s31, s25
	s_mul_i32 s31, s37, s24
	s_add_i32 s25, s25, s31
	s_mul_i32 s24, s36, s24
	s_add_u32 s40, s24, s40
	s_addc_u32 s39, s25, s39
	s_add_u32 s28, s28, 1
	s_addc_u32 s29, s29, 0
	;; [unrolled: 2-line block ×3, first 2 shown]
	v_cmp_ge_u64_e32 vcc, s[28:29], v[1:2]
	s_add_u32 s26, s26, 8
	s_addc_u32 s27, s27, 0
	s_cbranch_vccnz .LBB0_10
; %bb.8:                                ;   in Loop: Header=BB0_4 Depth=1
	s_mov_b64 s[24:25], s[0:1]
	s_branch .LBB0_4
.LBB0_9:                                ;   in Loop: Header=BB0_4 Depth=1
                                        ; implicit-def: $sgpr0_sgpr1
	s_branch .LBB0_6
.LBB0_10:
	v_mov_b32_e32 v1, s22
	v_mov_b32_e32 v2, s23
	v_cmp_lt_u64_e32 vcc, s[6:7], v[1:2]
	s_mov_b64 s[24:25], 0
	s_cbranch_vccnz .LBB0_12
; %bb.11:
	v_cvt_f32_u32_e32 v1, s22
	s_sub_i32 s0, 0, s22
	v_rcp_iflag_f32_e32 v1, v1
	v_mul_f32_e32 v1, 0x4f7ffffe, v1
	v_cvt_u32_f32_e32 v1, v1
	v_readfirstlane_b32 s1, v1
	s_mul_i32 s0, s0, s1
	s_mul_hi_u32 s0, s1, s0
	s_add_i32 s1, s1, s0
	s_mul_hi_u32 s0, s6, s1
	s_mul_i32 s4, s0, s22
	s_sub_i32 s4, s6, s4
	s_add_i32 s1, s0, 1
	s_sub_i32 s5, s4, s22
	s_cmp_ge_u32 s4, s22
	s_cselect_b32 s0, s1, s0
	s_cselect_b32 s4, s5, s4
	s_add_i32 s1, s0, 1
	s_cmp_ge_u32 s4, s22
	s_cselect_b32 s24, s1, s0
.LBB0_12:
	s_lshl_b64 s[0:1], s[18:19], 3
	s_add_u32 s0, s2, s0
	s_addc_u32 s1, s3, s1
	s_load_dwordx2 s[0:1], s[0:1], 0x0
	v_mul_u32_u24_e32 v1, 0x1746, v0
	v_lshrrev_b32_e32 v3, 16, v1
	v_mul_lo_u16_e32 v1, 11, v3
	v_sub_u16_e32 v58, v0, v1
	s_waitcnt lgkmcnt(0)
	s_mul_i32 s1, s1, s24
	s_mul_hi_u32 s2, s0, s24
	s_mul_i32 s0, s0, s24
	s_add_i32 s1, s2, s1
	s_add_u32 s2, s0, s40
	s_addc_u32 s3, s1, s39
	v_mov_b32_e32 v1, s33
	v_add_co_u32_e32 v23, vcc, s38, v58
	v_addc_co_u32_e32 v24, vcc, 0, v1, vcc
	s_add_u32 s0, s38, 11
	v_mov_b32_e32 v1, s14
	s_addc_u32 s1, s33, 0
	v_mov_b32_e32 v2, s15
	v_mad_u64_u32 v[21:22], s[4:5], s10, v58, 0
	v_mul_lo_u32 v4, s8, v3
	v_cmp_le_u64_e32 vcc, s[0:1], v[1:2]
	v_add_u32_e32 v2, 11, v3
	v_mul_lo_u32 v2, s8, v2
	v_cmp_gt_u64_e64 s[0:1], s[14:15], v[23:24]
	v_add_lshl_u32 v1, v21, v4, 3
	s_or_b64 vcc, vcc, s[0:1]
	v_cndmask_b32_e32 v12, -1, v1, vcc
	v_add_lshl_u32 v1, v21, v2, 3
	v_cndmask_b32_e32 v13, -1, v1, vcc
	v_add_u32_e32 v1, 22, v3
	v_add_u32_e32 v2, 0x6e, v3
	v_mul_lo_u32 v2, s8, v2
	v_mul_lo_u32 v1, s8, v1
	v_add_u32_e32 v4, 33, v3
	v_mul_lo_u32 v6, s8, v4
	v_add_lshl_u32 v2, v21, v2, 3
	v_add_lshl_u32 v1, v21, v1, 3
	s_lshl_b32 s4, s2, 3
	s_mov_b32 s15, 0x20000
	s_mov_b32 s14, -2
	v_cndmask_b32_e32 v2, -1, v2, vcc
	v_cndmask_b32_e32 v14, -1, v1, vcc
	v_add_lshl_u32 v1, v21, v6, 3
	buffer_load_dwordx2 v[4:5], v2, s[12:15], s4 offen
	v_cndmask_b32_e32 v15, -1, v1, vcc
	buffer_load_dwordx2 v[1:2], v12, s[12:15], s4 offen
	buffer_load_dwordx2 v[6:7], v13, s[12:15], s4 offen
	;; [unrolled: 1-line block ×4, first 2 shown]
	v_add_u32_e32 v12, 44, v3
	v_add_u32_e32 v13, 55, v3
	v_mul_lo_u32 v12, s8, v12
	v_add_u32_e32 v14, 0x42, v3
	v_mul_lo_u32 v13, s8, v13
	v_add_u32_e32 v15, 0x4d, v3
	v_add_u32_e32 v16, 0x58, v3
	v_mul_lo_u32 v14, s8, v14
	v_add_u32_e32 v17, 0x63, v3
	v_mul_lo_u32 v15, s8, v15
	v_mul_lo_u32 v16, s8, v16
	;; [unrolled: 1-line block ×3, first 2 shown]
	v_add_lshl_u32 v12, v21, v12, 3
	v_add_lshl_u32 v18, v21, v13, 3
	v_cndmask_b32_e32 v12, -1, v12, vcc
	v_add_lshl_u32 v19, v21, v14, 3
	buffer_load_dwordx2 v[12:13], v12, s[12:15], s4 offen
	v_cndmask_b32_e32 v14, -1, v18, vcc
	v_add_lshl_u32 v20, v21, v15, 3
	buffer_load_dwordx2 v[14:15], v14, s[12:15], s4 offen
	v_add_lshl_u32 v24, v21, v16, 3
	v_cndmask_b32_e32 v16, -1, v19, vcc
	v_add_lshl_u32 v26, v21, v17, 3
	buffer_load_dwordx2 v[16:17], v16, s[12:15], s4 offen
	v_cndmask_b32_e32 v18, -1, v20, vcc
	buffer_load_dwordx2 v[18:19], v18, s[12:15], s4 offen
	v_cndmask_b32_e32 v20, -1, v24, vcc
	;; [unrolled: 2-line block ×3, first 2 shown]
	buffer_load_dwordx2 v[26:27], v20, s[12:15], s4 offen
	s_mov_b32 s0, 0x3f575c64
	s_mov_b32 s1, 0x3ed4b147
	;; [unrolled: 1-line block ×5, first 2 shown]
	s_movk_i32 s7, 0x3c8
	s_waitcnt vmcnt(8)
	v_add_f32_e32 v20, v1, v6
	v_add_f32_e32 v28, v2, v7
	v_add_f32_e32 v30, v4, v6
	v_add_f32_e32 v31, v5, v7
	v_sub_f32_e32 v32, v6, v4
	v_sub_f32_e32 v33, v7, v5
	s_waitcnt vmcnt(7)
	v_add_f32_e32 v6, v20, v8
	v_add_f32_e32 v7, v28, v9
	s_waitcnt vmcnt(6)
	v_add_f32_e32 v6, v6, v10
	v_add_f32_e32 v7, v7, v11
	v_mul_f32_e32 v43, 0xbf4178ce, v33
	v_fma_f32 v44, v30, s5, -v43
	v_fmac_f32_e32 v43, 0xbf27a4f4, v30
	v_mul_f32_e32 v47, 0xbf7d64f0, v32
	v_mul_f32_e32 v49, 0xbf4178ce, v32
	v_mov_b32_e32 v48, v47
	v_mov_b32_e32 v50, v49
	v_fmac_f32_e32 v48, 0xbe11bafb, v31
	v_fma_f32 v47, v31, s4, -v47
	s_waitcnt vmcnt(5)
	v_add_f32_e32 v6, v6, v12
	v_add_f32_e32 v7, v7, v13
	v_fmac_f32_e32 v50, 0xbf27a4f4, v31
	s_waitcnt vmcnt(4)
	v_add_f32_e32 v6, v6, v14
	v_add_f32_e32 v7, v7, v15
	v_fma_f32 v49, v31, s5, -v49
	v_add_f32_e32 v48, v2, v48
	s_waitcnt vmcnt(3)
	v_add_f32_e32 v6, v6, v16
	v_add_f32_e32 v7, v7, v17
	s_waitcnt vmcnt(2)
	v_add_f32_e32 v6, v6, v18
	v_add_f32_e32 v7, v7, v19
	s_waitcnt vmcnt(1)
	v_add_f32_e32 v6, v6, v24
	v_add_f32_e32 v7, v7, v25
	s_waitcnt vmcnt(0)
	v_add_f32_e32 v6, v6, v26
	v_add_f32_e32 v7, v7, v27
	v_add_f32_e32 v28, v6, v4
	;; [unrolled: 1-line block ×5, first 2 shown]
	v_sub_f32_e32 v20, v8, v26
	v_sub_f32_e32 v26, v9, v27
	v_mul_f32_e32 v9, 0xbf0a6770, v33
	v_add_f32_e32 v27, v24, v10
	v_sub_f32_e32 v24, v10, v24
	v_fma_f32 v4, v30, s0, -v9
	v_mul_f32_e32 v10, 0xbf68dda4, v26
	v_add_f32_e32 v34, v25, v11
	v_sub_f32_e32 v25, v11, v25
	v_add_f32_e32 v4, v1, v4
	v_fma_f32 v7, v6, s1, -v10
	v_mul_f32_e32 v11, 0xbf0a6770, v32
	v_add_f32_e32 v35, v18, v12
	v_sub_f32_e32 v37, v12, v18
	v_add_f32_e32 v4, v7, v4
	v_mov_b32_e32 v7, v11
	v_mul_f32_e32 v12, 0xbf68dda4, v20
	v_fmac_f32_e32 v7, 0x3f575c64, v31
	v_mov_b32_e32 v8, v12
	v_add_f32_e32 v36, v19, v13
	v_sub_f32_e32 v19, v13, v19
	v_add_f32_e32 v7, v2, v7
	v_fmac_f32_e32 v8, 0x3ed4b147, v5
	v_mul_f32_e32 v13, 0xbf7d64f0, v25
	v_add_f32_e32 v38, v16, v14
	v_sub_f32_e32 v40, v14, v16
	v_add_f32_e32 v7, v8, v7
	v_fma_f32 v8, v27, s4, -v13
	v_mul_f32_e32 v14, 0xbf7d64f0, v24
	v_add_f32_e32 v4, v8, v4
	v_mov_b32_e32 v8, v14
	v_add_f32_e32 v39, v17, v15
	v_sub_f32_e32 v41, v15, v17
	v_fmac_f32_e32 v8, 0xbe11bafb, v34
	v_mul_f32_e32 v15, 0xbf4178ce, v19
	v_add_f32_e32 v7, v8, v7
	v_fma_f32 v8, v35, s5, -v15
	v_mul_f32_e32 v16, 0xbf4178ce, v37
	v_add_f32_e32 v4, v8, v4
	v_mov_b32_e32 v8, v16
	v_fmac_f32_e32 v8, 0xbf27a4f4, v36
	v_mul_f32_e32 v17, 0xbe903f40, v41
	v_add_f32_e32 v8, v8, v7
	v_fma_f32 v7, v38, s6, -v17
	v_mul_f32_e32 v18, 0xbe903f40, v40
	v_add_f32_e32 v7, v7, v4
	v_mov_b32_e32 v4, v18
	v_fmac_f32_e32 v4, 0xbf75a155, v39
	v_add_f32_e32 v8, v4, v8
	v_mad_u32_u24 v4, v3, s7, 0
	v_lshl_add_u32 v42, v58, 3, v4
	ds_write2_b64 v42, v[28:29], v[7:8] offset1:11
	v_mul_f32_e32 v7, 0xbf68dda4, v33
	v_mul_f32_e32 v28, 0xbf7d64f0, v33
	;; [unrolled: 1-line block ×3, first 2 shown]
	v_fmac_f32_e32 v9, 0x3f575c64, v30
	v_fma_f32 v8, v30, s1, -v7
	v_fmac_f32_e32 v7, 0x3ed4b147, v30
	v_fma_f32 v29, v30, s4, -v28
	;; [unrolled: 2-line block ×3, first 2 shown]
	v_fmac_f32_e32 v33, 0xbf75a155, v30
	v_mul_f32_e32 v30, 0xbf68dda4, v32
	v_mul_f32_e32 v32, 0xbe903f40, v32
	v_mov_b32_e32 v46, v30
	v_mov_b32_e32 v51, v32
	v_fma_f32 v11, v31, s0, -v11
	v_fmac_f32_e32 v46, 0x3ed4b147, v31
	v_fma_f32 v30, v31, s1, -v30
	v_fmac_f32_e32 v51, 0xbf75a155, v31
	v_fma_f32 v31, v31, s6, -v32
	v_add_f32_e32 v11, v2, v11
	v_add_f32_e32 v32, v2, v46
	;; [unrolled: 1-line block ×8, first 2 shown]
	v_fma_f32 v2, v5, s1, -v12
	v_add_f32_e32 v46, v1, v7
	v_add_f32_e32 v2, v2, v11
	v_fma_f32 v7, v34, s4, -v14
	v_add_f32_e32 v9, v1, v9
	v_fmac_f32_e32 v10, 0x3ed4b147, v6
	v_add_f32_e32 v2, v7, v2
	v_fma_f32 v7, v36, s5, -v16
	v_add_f32_e32 v8, v1, v8
	v_add_f32_e32 v29, v1, v29
	;; [unrolled: 1-line block ×9, first 2 shown]
	v_fma_f32 v7, v39, s6, -v18
	v_mul_f32_e32 v9, 0xbf4178ce, v26
	v_add_f32_e32 v2, v7, v2
	v_fma_f32 v7, v6, s5, -v9
	v_mul_f32_e32 v11, 0x3e903f40, v25
	v_add_f32_e32 v7, v7, v8
	v_mul_f32_e32 v10, 0xbf4178ce, v20
	v_fma_f32 v12, v27, s6, -v11
	v_fmac_f32_e32 v13, 0xbe11bafb, v27
	v_mov_b32_e32 v8, v10
	v_add_f32_e32 v7, v12, v7
	v_mul_f32_e32 v12, 0x3e903f40, v24
	v_add_f32_e32 v1, v13, v1
	v_fmac_f32_e32 v8, 0xbf27a4f4, v5
	v_mov_b32_e32 v13, v12
	v_add_f32_e32 v8, v8, v32
	v_fmac_f32_e32 v13, 0xbf75a155, v34
	v_add_f32_e32 v8, v13, v8
	v_mul_f32_e32 v13, 0x3f7d64f0, v19
	v_fma_f32 v14, v35, s4, -v13
	v_fmac_f32_e32 v15, 0xbf27a4f4, v35
	v_add_f32_e32 v7, v14, v7
	v_mul_f32_e32 v14, 0x3f7d64f0, v37
	v_add_f32_e32 v1, v15, v1
	v_mov_b32_e32 v15, v14
	v_fmac_f32_e32 v15, 0xbe11bafb, v36
	v_fmac_f32_e32 v9, 0xbf27a4f4, v6
	v_add_f32_e32 v8, v15, v8
	v_mul_f32_e32 v15, 0x3f0a6770, v41
	v_add_f32_e32 v9, v9, v46
	v_fma_f32 v10, v5, s5, -v10
	v_fmac_f32_e32 v11, 0xbf75a155, v27
	v_fma_f32 v16, v38, s0, -v15
	v_add_f32_e32 v10, v10, v30
	v_add_f32_e32 v9, v11, v9
	v_fma_f32 v11, v34, s6, -v12
	v_add_f32_e32 v7, v16, v7
	v_mul_f32_e32 v16, 0x3f0a6770, v40
	v_add_f32_e32 v10, v11, v10
	v_fmac_f32_e32 v13, 0xbe11bafb, v35
	v_fma_f32 v11, v36, s4, -v14
	v_add_f32_e32 v9, v13, v9
	v_add_f32_e32 v10, v11, v10
	v_fmac_f32_e32 v15, 0x3f575c64, v38
	v_fma_f32 v11, v39, s0, -v16
	v_mul_f32_e32 v13, 0x3e903f40, v26
	v_fmac_f32_e32 v17, 0xbf75a155, v38
	v_add_f32_e32 v9, v15, v9
	v_add_f32_e32 v10, v11, v10
	v_fma_f32 v11, v6, s6, -v13
	v_mul_f32_e32 v15, 0x3f68dda4, v25
	v_add_f32_e32 v1, v17, v1
	v_mov_b32_e32 v17, v16
	v_add_f32_e32 v11, v11, v29
	v_mul_f32_e32 v14, 0x3e903f40, v20
	v_fma_f32 v16, v27, s1, -v15
	v_fmac_f32_e32 v17, 0x3f575c64, v39
	v_mov_b32_e32 v12, v14
	v_add_f32_e32 v11, v16, v11
	v_mul_f32_e32 v16, 0x3f68dda4, v24
	v_add_f32_e32 v8, v17, v8
	v_fmac_f32_e32 v12, 0xbf75a155, v5
	v_mov_b32_e32 v17, v16
	v_add_f32_e32 v12, v12, v48
	v_fmac_f32_e32 v17, 0x3ed4b147, v34
	v_add_f32_e32 v12, v17, v12
	v_mul_f32_e32 v17, 0xbf0a6770, v19
	v_fma_f32 v18, v35, s0, -v17
	v_add_f32_e32 v11, v18, v11
	v_mul_f32_e32 v18, 0xbf0a6770, v37
	v_mov_b32_e32 v29, v18
	v_fmac_f32_e32 v29, 0x3f575c64, v36
	v_fmac_f32_e32 v13, 0xbf75a155, v6
	v_add_f32_e32 v12, v29, v12
	v_mul_f32_e32 v29, 0xbf4178ce, v41
	v_add_f32_e32 v13, v13, v28
	v_fma_f32 v14, v5, s6, -v14
	v_fmac_f32_e32 v15, 0x3ed4b147, v27
	v_fma_f32 v30, v38, s5, -v29
	v_add_f32_e32 v14, v14, v47
	v_add_f32_e32 v13, v15, v13
	v_fma_f32 v15, v34, s1, -v16
	v_add_f32_e32 v11, v30, v11
	v_mul_f32_e32 v30, 0xbf4178ce, v40
	v_add_f32_e32 v14, v15, v14
	v_fmac_f32_e32 v17, 0x3f575c64, v35
	v_fma_f32 v15, v36, s0, -v18
	v_add_f32_e32 v13, v17, v13
	v_add_f32_e32 v14, v15, v14
	v_fma_f32 v15, v39, s5, -v30
	v_mul_f32_e32 v17, 0x3f7d64f0, v26
	v_fmac_f32_e32 v29, 0xbf27a4f4, v38
	v_add_f32_e32 v14, v15, v14
	v_fma_f32 v15, v6, s4, -v17
	v_mul_f32_e32 v28, 0xbf0a6770, v25
	v_add_f32_e32 v13, v29, v13
	v_add_f32_e32 v15, v15, v44
	v_mul_f32_e32 v18, 0x3f7d64f0, v20
	v_fma_f32 v29, v27, s0, -v28
	v_mov_b32_e32 v16, v18
	v_add_f32_e32 v15, v29, v15
	v_mul_f32_e32 v29, 0xbf0a6770, v24
	v_mov_b32_e32 v32, v30
	v_fmac_f32_e32 v16, 0xbe11bafb, v5
	v_mov_b32_e32 v30, v29
	v_add_f32_e32 v16, v16, v50
	v_fmac_f32_e32 v30, 0x3f575c64, v34
	v_fmac_f32_e32 v32, 0xbf27a4f4, v39
	v_add_f32_e32 v16, v30, v16
	v_mul_f32_e32 v30, 0xbe903f40, v19
	v_add_f32_e32 v12, v32, v12
	v_fma_f32 v32, v35, s6, -v30
	v_add_f32_e32 v15, v32, v15
	v_mul_f32_e32 v32, 0xbe903f40, v37
	v_mov_b32_e32 v44, v32
	v_fmac_f32_e32 v44, 0xbf75a155, v36
	v_fmac_f32_e32 v17, 0xbe11bafb, v6
	v_add_f32_e32 v16, v44, v16
	v_mul_f32_e32 v44, 0x3f68dda4, v41
	v_add_f32_e32 v17, v17, v43
	v_fma_f32 v18, v5, s4, -v18
	v_fmac_f32_e32 v28, 0x3f575c64, v27
	v_fma_f32 v46, v38, s1, -v44
	v_add_f32_e32 v18, v18, v49
	v_add_f32_e32 v17, v28, v17
	v_fma_f32 v28, v34, s0, -v29
	v_add_f32_e32 v15, v46, v15
	v_mul_f32_e32 v46, 0x3f68dda4, v40
	v_add_f32_e32 v18, v28, v18
	v_fma_f32 v28, v36, s6, -v32
	v_add_f32_e32 v18, v28, v18
	v_fma_f32 v28, v39, s1, -v46
	v_mul_f32_e32 v26, 0x3f0a6770, v26
	v_fmac_f32_e32 v30, 0xbf75a155, v35
	v_add_f32_e32 v18, v28, v18
	v_fma_f32 v28, v6, s0, -v26
	v_mul_f32_e32 v29, 0x3f0a6770, v20
	v_mul_f32_e32 v25, 0xbf4178ce, v25
	v_add_f32_e32 v17, v30, v17
	v_add_f32_e32 v28, v28, v45
	v_mov_b32_e32 v20, v29
	v_fma_f32 v30, v27, s5, -v25
	v_mul_f32_e32 v24, 0xbf4178ce, v24
	v_fmac_f32_e32 v20, 0x3f575c64, v5
	v_add_f32_e32 v28, v30, v28
	v_mov_b32_e32 v30, v24
	v_add_f32_e32 v20, v20, v51
	v_fmac_f32_e32 v30, 0xbf27a4f4, v34
	v_add_f32_e32 v20, v30, v20
	v_mul_f32_e32 v30, 0x3f68dda4, v19
	v_fma_f32 v19, v35, s1, -v30
	v_add_f32_e32 v19, v19, v28
	v_mul_f32_e32 v28, 0x3f68dda4, v37
	v_mov_b32_e32 v32, v28
	v_fmac_f32_e32 v32, 0x3ed4b147, v36
	v_add_f32_e32 v20, v32, v20
	v_mul_f32_e32 v32, 0xbf7d64f0, v41
	v_fma_f32 v37, v38, s4, -v32
	v_fmac_f32_e32 v26, 0x3f575c64, v6
	v_fma_f32 v5, v5, s0, -v29
	v_add_f32_e32 v19, v37, v19
	v_mul_f32_e32 v37, 0xbf7d64f0, v40
	v_add_f32_e32 v6, v26, v33
	v_add_f32_e32 v5, v5, v31
	v_fmac_f32_e32 v25, 0xbf27a4f4, v27
	v_fma_f32 v24, v34, s5, -v24
	v_mov_b32_e32 v47, v46
	v_mov_b32_e32 v40, v37
	v_add_f32_e32 v6, v25, v6
	v_add_f32_e32 v5, v24, v5
	v_fmac_f32_e32 v30, 0x3ed4b147, v35
	v_fma_f32 v24, v36, s1, -v28
	v_fmac_f32_e32 v47, 0x3ed4b147, v39
	v_fmac_f32_e32 v44, 0x3ed4b147, v38
	;; [unrolled: 1-line block ×3, first 2 shown]
	v_add_f32_e32 v6, v30, v6
	v_add_f32_e32 v24, v24, v5
	v_fmac_f32_e32 v32, 0xbe11bafb, v38
	v_fma_f32 v25, v39, s4, -v37
	v_add_f32_e32 v16, v47, v16
	v_add_f32_e32 v17, v44, v17
	;; [unrolled: 1-line block ×5, first 2 shown]
	ds_write2_b64 v42, v[7:8], v[11:12] offset0:22 offset1:33
	ds_write2_b64 v42, v[15:16], v[19:20] offset0:44 offset1:55
	;; [unrolled: 1-line block ×4, first 2 shown]
	ds_write_b64 v42, v[1:2] offset:880
	s_waitcnt lgkmcnt(0)
	s_barrier
	s_and_saveexec_b64 s[14:15], vcc
	s_cbranch_execz .LBB0_14
; %bb.13:
	v_mul_lo_u16_e32 v1, 24, v3
	v_mov_b32_e32 v2, 11
	v_mul_lo_u16_sdwa v1, v1, v2 dst_sel:DWORD dst_unused:UNUSED_PAD src0_sel:BYTE_1 src1_sel:DWORD
	v_sub_u16_e32 v1, v3, v1
	v_and_b32_e32 v59, 0xff, v1
	v_mul_u32_u24_e32 v1, 10, v59
	v_lshlrev_b32_e32 v24, 3, v1
	global_load_dwordx4 v[17:20], v24, s[20:21] offset:32
	global_load_dwordx4 v[9:12], v24, s[20:21] offset:48
	;; [unrolled: 1-line block ×3, first 2 shown]
	global_load_dwordx4 v[5:8], v24, s[20:21]
	v_mul_i32_i24_e32 v1, 0xfffffc90, v3
	v_lshlrev_b32_e32 v2, 3, v58
	v_add3_u32 v25, v4, v1, v2
	v_add_u32_e32 v26, 0x1000, v25
	v_add_u32_e32 v27, 0x1400, v25
	;; [unrolled: 1-line block ×4, first 2 shown]
	ds_read2_b64 v[1:4], v25 offset1:121
	ds_read_b64 v[56:57], v25 offset:3872
	ds_read_b64 v[85:86], v25 offset:9680
	ds_read2_b32 v[61:62], v26 offset0:186 offset1:187
	ds_read2_b64 v[44:47], v27 offset0:86 offset1:207
	ds_read2_b64 v[48:51], v28 offset0:114 offset1:235
	;; [unrolled: 1-line block ×3, first 2 shown]
	global_load_dwordx4 v[81:84], v24, s[20:21] offset:64
	v_add_u32_e32 v25, 0x6e, v59
	v_add_u32_e32 v26, 0x63, v59
	;; [unrolled: 1-line block ×6, first 2 shown]
	v_mul_lo_u32 v76, v23, v25
	v_mul_lo_u32 v77, v23, v26
	;; [unrolled: 1-line block ×6, first 2 shown]
	v_mov_b32_e32 v60, 3
	v_lshlrev_b32_sdwa v63, v60, v76 dst_sel:DWORD dst_unused:UNUSED_PAD src0_sel:DWORD src1_sel:BYTE_0
	v_lshlrev_b32_sdwa v64, v60, v76 dst_sel:DWORD dst_unused:UNUSED_PAD src0_sel:DWORD src1_sel:BYTE_1
	v_lshlrev_b32_sdwa v65, v60, v77 dst_sel:DWORD dst_unused:UNUSED_PAD src0_sel:DWORD src1_sel:BYTE_0
	v_lshlrev_b32_sdwa v66, v60, v77 dst_sel:DWORD dst_unused:UNUSED_PAD src0_sel:DWORD src1_sel:BYTE_1
	;; [unrolled: 2-line block ×6, first 2 shown]
	global_load_dwordx2 v[87:88], v63, s[16:17]
	global_load_dwordx2 v[89:90], v64, s[16:17] offset:2048
	global_load_dwordx2 v[40:41], v65, s[16:17]
	global_load_dwordx2 v[42:43], v66, s[16:17] offset:2048
	global_load_dwordx2 v[36:37], v68, s[16:17] offset:2048
	global_load_dwordx2 v[38:39], v67, s[16:17]
	global_load_dwordx2 v[32:33], v69, s[16:17]
	global_load_dwordx2 v[34:35], v70, s[16:17] offset:2048
	global_load_dwordx2 v[28:29], v71, s[16:17]
	global_load_dwordx2 v[30:31], v72, s[16:17] offset:2048
	;; [unrolled: 2-line block ×3, first 2 shown]
	v_mov_b32_e32 v80, 0x1000
	s_waitcnt vmcnt(16) lgkmcnt(3)
	v_mul_f32_e32 v64, v18, v61
	s_waitcnt vmcnt(15) lgkmcnt(2)
	v_mul_f32_e32 v66, v46, v10
	v_mul_f32_e32 v10, v47, v10
	s_waitcnt lgkmcnt(0)
	v_mul_f32_e32 v70, v52, v12
	v_mul_f32_e32 v12, v53, v12
	s_waitcnt vmcnt(13)
	v_mul_f32_e32 v73, v8, v48
	v_mul_f32_e32 v8, v8, v49
	v_fmac_f32_e32 v66, v47, v9
	v_fma_f32 v63, v46, v9, -v10
	v_fmac_f32_e32 v70, v53, v11
	v_fma_f32 v68, v52, v11, -v12
	v_add_u32_e32 v9, 44, v59
	v_fma_f32 v74, v7, v48, -v8
	v_add_u32_e32 v8, 33, v59
	v_add_u32_e32 v11, 22, v59
	v_mul_lo_u32 v95, v23, v9
	v_mul_lo_u32 v96, v23, v8
	;; [unrolled: 1-line block ×3, first 2 shown]
	v_mul_f32_e32 v65, v44, v20
	v_mul_f32_e32 v20, v45, v20
	;; [unrolled: 1-line block ×7, first 2 shown]
	v_fmac_f32_e32 v64, v62, v17
	v_fmac_f32_e32 v65, v45, v19
	v_fma_f32 v62, v44, v19, -v20
	v_fmac_f32_e32 v69, v15, v57
	v_fma_f32 v67, v15, v56, -v16
	v_fmac_f32_e32 v73, v7, v49
	v_lshlrev_b32_sdwa v7, v60, v95 dst_sel:DWORD dst_unused:UNUSED_PAD src0_sel:DWORD src1_sel:BYTE_0
	v_lshlrev_b32_sdwa v9, v60, v95 dst_sel:DWORD dst_unused:UNUSED_PAD src0_sel:DWORD src1_sel:BYTE_1
	v_lshlrev_b32_sdwa v15, v60, v96 dst_sel:DWORD dst_unused:UNUSED_PAD src0_sel:DWORD src1_sel:BYTE_0
	v_lshlrev_b32_sdwa v16, v60, v96 dst_sel:DWORD dst_unused:UNUSED_PAD src0_sel:DWORD src1_sel:BYTE_1
	v_lshlrev_b32_sdwa v19, v60, v97 dst_sel:DWORD dst_unused:UNUSED_PAD src0_sel:DWORD src1_sel:BYTE_0
	v_fma_f32 v61, v17, v61, -v18
	v_fmac_f32_e32 v72, v13, v51
	v_fma_f32 v71, v13, v50, -v14
	global_load_dwordx2 v[7:8], v7, s[16:17]
	v_lshlrev_b32_sdwa v20, v60, v97 dst_sel:DWORD dst_unused:UNUSED_PAD src0_sel:DWORD src1_sel:BYTE_1
	global_load_dwordx2 v[9:10], v9, s[16:17] offset:2048
	s_nop 0
	global_load_dwordx2 v[11:12], v15, s[16:17]
	global_load_dwordx2 v[13:14], v16, s[16:17] offset:2048
	s_nop 0
	global_load_dwordx2 v[15:16], v19, s[16:17]
	global_load_dwordx2 v[17:18], v20, s[16:17] offset:2048
	v_add_u32_e32 v19, 11, v59
	v_mul_lo_u32 v79, v23, v19
	s_waitcnt vmcnt(18)
	v_mul_f32_e32 v50, v55, v82
	v_bfe_u32 v48, v76, 16, 8
	v_fma_f32 v76, v54, v81, -v50
	v_lshlrev_b32_sdwa v46, v60, v79 dst_sel:DWORD dst_unused:UNUSED_PAD src0_sel:DWORD src1_sel:BYTE_0
	v_lshlrev_b32_sdwa v47, v60, v79 dst_sel:DWORD dst_unused:UNUSED_PAD src0_sel:DWORD src1_sel:BYTE_1
	global_load_dwordx2 v[19:20], v46, s[16:17]
	global_load_dwordx2 v[44:45], v47, s[16:17] offset:2048
	v_bfe_u32 v46, v77, 16, 8
	v_bfe_u32 v50, v91, 16, 8
	v_lshl_or_b32 v46, v46, 3, v80
	v_lshl_or_b32 v48, v48, 3, v80
	;; [unrolled: 1-line block ×3, first 2 shown]
	global_load_dwordx2 v[46:47], v46, s[16:17]
	v_mul_f32_e32 v75, v54, v82
	global_load_dwordx2 v[48:49], v48, s[16:17]
	v_bfe_u32 v54, v94, 16, 8
	global_load_dwordx2 v[52:53], v50, s[16:17]
	v_bfe_u32 v50, v92, 16, 8
	v_lshl_or_b32 v50, v50, 3, v80
	v_fmac_f32_e32 v75, v55, v81
	global_load_dwordx2 v[50:51], v50, s[16:17]
	v_lshl_or_b32 v81, v54, 3, v80
	v_bfe_u32 v54, v93, 16, 8
	v_lshl_or_b32 v82, v54, 3, v80
	global_load_dwordx2 v[54:55], v81, s[16:17]
	global_load_dwordx2 v[56:57], v82, s[16:17]
	v_mul_f32_e32 v78, v6, v3
	v_mul_f32_e32 v6, v6, v4
	v_fma_f32 v6, v5, v3, -v6
	v_bfe_u32 v3, v95, 16, 8
	v_lshl_or_b32 v3, v3, 3, v80
	v_fmac_f32_e32 v78, v5, v4
	global_load_dwordx2 v[3:4], v3, s[16:17]
	v_mul_f32_e32 v81, v86, v84
	v_fma_f32 v5, v85, v83, -v81
	v_bfe_u32 v81, v96, 16, 8
	v_mul_f32_e32 v77, v85, v84
	v_lshl_or_b32 v81, v81, 3, v80
	global_load_dwordx2 v[81:82], v81, s[16:17]
	v_fmac_f32_e32 v77, v86, v83
	s_waitcnt vmcnt(26)
	v_mul_f32_e32 v83, v88, v90
	v_bfe_u32 v79, v79, 16, 8
	v_fma_f32 v91, v87, v89, -v83
	v_mul_f32_e32 v87, v87, v90
	v_bfe_u32 v83, v97, 16, 8
	v_lshl_or_b32 v79, v79, 3, v80
	v_fmac_f32_e32 v87, v88, v89
	v_lshl_or_b32 v88, v83, 3, v80
	global_load_dwordx2 v[83:84], v79, s[16:17]
	global_load_dwordx2 v[85:86], v88, s[16:17]
	s_waitcnt vmcnt(26)
	v_mul_f32_e32 v79, v41, v43
	v_fma_f32 v79, v40, v42, -v79
	v_mul_f32_e32 v40, v40, v43
	v_fmac_f32_e32 v40, v41, v42
	s_waitcnt vmcnt(24)
	v_mul_f32_e32 v41, v39, v37
	v_mul_f32_e32 v37, v38, v37
	v_fma_f32 v41, v38, v36, -v41
	v_fmac_f32_e32 v37, v39, v36
	s_waitcnt vmcnt(22)
	v_mul_f32_e32 v36, v33, v35
	v_fma_f32 v36, v32, v34, -v36
	v_mul_f32_e32 v32, v32, v35
	v_fmac_f32_e32 v32, v33, v34
	s_waitcnt vmcnt(20)
	v_mul_f32_e32 v33, v29, v31
	v_fma_f32 v33, v28, v30, -v33
	v_mul_f32_e32 v28, v28, v31
	;; [unrolled: 5-line block ×3, first 2 shown]
	v_mul_lo_u32 v30, v23, v59
	v_fmac_f32_e32 v24, v25, v26
	v_sub_f32_e32 v42, v6, v5
	v_add_f32_e32 v43, v72, v70
	v_mul_f32_e32 v101, 0x3ed4b147, v43
	v_mul_f32_e32 v111, 0x3f575c64, v43
	s_waitcnt vmcnt(16)
	v_mul_f32_e32 v25, v8, v10
	v_fma_f32 v25, v7, v9, -v25
	v_mul_f32_e32 v26, v7, v10
	s_waitcnt vmcnt(14)
	v_mul_f32_e32 v7, v12, v14
	v_fma_f32 v27, v11, v13, -v7
	v_mul_f32_e32 v11, v11, v14
	s_waitcnt vmcnt(12)
	v_mul_f32_e32 v7, v16, v18
	v_fmac_f32_e32 v11, v12, v13
	v_fma_f32 v12, v15, v17, -v7
	v_bfe_u32 v7, v30, 16, 8
	v_mul_f32_e32 v13, v15, v18
	v_lshl_or_b32 v14, v7, 3, v80
	v_lshlrev_b32_sdwa v15, v60, v30 dst_sel:DWORD dst_unused:UNUSED_PAD src0_sel:DWORD src1_sel:BYTE_0
	s_waitcnt vmcnt(10)
	v_mul_f32_e32 v34, v19, v45
	v_fmac_f32_e32 v26, v8, v9
	global_load_dwordx2 v[7:8], v15, s[16:17]
	global_load_dwordx2 v[9:10], v14, s[16:17]
	v_mul_f32_e32 v14, v20, v45
	v_fmac_f32_e32 v34, v20, v44
	v_fmac_f32_e32 v13, v16, v17
	v_fma_f32 v31, v19, v44, -v14
	s_waitcnt vmcnt(9)
	v_mul_f32_e32 v18, v37, v53
	v_fma_f32 v18, v52, v41, -v18
	v_mul_f32_e32 v19, v41, v53
	v_mul_f32_e32 v17, v79, v47
	s_waitcnt vmcnt(8)
	v_mul_f32_e32 v23, v36, v51
	v_mul_f32_e32 v20, v32, v51
	v_fmac_f32_e32 v23, v50, v32
	v_fma_f32 v20, v50, v36, -v20
	s_waitcnt vmcnt(6)
	v_mul_f32_e32 v32, v28, v57
	v_fma_f32 v32, v56, v33, -v32
	v_mul_f32_e32 v33, v33, v57
	v_fmac_f32_e32 v33, v56, v28
	v_mul_f32_e32 v28, v24, v55
	v_fma_f32 v28, v54, v29, -v28
	v_mul_f32_e32 v29, v29, v55
	v_fmac_f32_e32 v29, v54, v24
	s_waitcnt vmcnt(5)
	v_mul_f32_e32 v24, v26, v4
	v_fma_f32 v35, v3, v25, -v24
	v_mul_f32_e32 v24, v25, v4
	v_fmac_f32_e32 v24, v3, v26
	v_mov_b32_e32 v3, v22
	v_mad_u64_u32 v[3:4], s[10:11], s11, v58, v[3:4]
	s_waitcnt vmcnt(4)
	v_mul_f32_e32 v25, v11, v82
	v_add_f32_e32 v26, v78, v77
	v_fma_f32 v36, v81, v27, -v25
	v_add_f32_e32 v25, v73, v75
	v_mul_f32_e32 v41, 0x3f575c64, v26
	v_mov_b32_e32 v22, v3
	v_mul_f32_e32 v39, 0x3ed4b147, v25
	v_mov_b32_e32 v4, v41
	s_waitcnt vmcnt(2)
	v_mul_f32_e32 v3, v13, v86
	v_mul_f32_e32 v16, v40, v47
	v_fmac_f32_e32 v17, v46, v40
	v_fmac_f32_e32 v19, v52, v37
	v_fma_f32 v37, v85, v12, -v3
	v_sub_f32_e32 v40, v74, v76
	v_mov_b32_e32 v3, v39
	v_fmac_f32_e32 v4, 0x3f0a6770, v42
	v_fmac_f32_e32 v3, 0x3f68dda4, v40
	v_add_f32_e32 v4, v4, v2
	v_mul_f32_e32 v44, 0xbe11bafb, v43
	v_fma_f32 v16, v46, v79, -v16
	v_add_f32_e32 v3, v3, v4
	v_sub_f32_e32 v45, v71, v68
	v_mov_b32_e32 v4, v44
	v_add_f32_e32 v46, v69, v66
	v_mul_f32_e32 v14, v87, v49
	v_mul_f32_e32 v15, v91, v49
	v_fmac_f32_e32 v4, 0x3f7d64f0, v45
	v_mul_f32_e32 v47, 0xbf27a4f4, v46
	v_fma_f32 v14, v48, v91, -v14
	v_fmac_f32_e32 v15, v48, v87
	v_add_f32_e32 v3, v4, v3
	v_sub_f32_e32 v48, v67, v63
	v_mov_b32_e32 v4, v47
	v_add_f32_e32 v49, v64, v65
	v_fmac_f32_e32 v4, 0x3f4178ce, v48
	v_mul_f32_e32 v50, 0xbf75a155, v49
	v_add_f32_e32 v3, v4, v3
	v_sub_f32_e32 v51, v61, v62
	v_mov_b32_e32 v4, v50
	v_sub_f32_e32 v56, v78, v77
	v_mul_f32_e32 v27, v27, v82
	v_fmac_f32_e32 v4, 0x3e903f40, v51
	v_sub_f32_e32 v53, v73, v75
	v_mul_f32_e32 v57, 0xbf0a6770, v56
	v_fmac_f32_e32 v27, v81, v11
	v_add_f32_e32 v11, v4, v3
	v_mul_f32_e32 v54, 0xbf68dda4, v53
	v_add_f32_e32 v55, v6, v5
	v_mov_b32_e32 v4, v57
	v_add_f32_e32 v52, v74, v76
	v_mov_b32_e32 v3, v54
	v_fmac_f32_e32 v4, 0x3f575c64, v55
	v_sub_f32_e32 v79, v72, v70
	v_fmac_f32_e32 v3, 0x3ed4b147, v52
	v_add_f32_e32 v4, v4, v1
	v_mul_f32_e32 v80, 0xbf7d64f0, v79
	v_mul_f32_e32 v38, v12, v86
	v_add_f32_e32 v3, v3, v4
	v_add_f32_e32 v58, v71, v68
	v_mov_b32_e32 v4, v80
	v_sub_f32_e32 v82, v69, v66
	v_fmac_f32_e32 v38, v85, v13
	v_fmac_f32_e32 v4, 0xbe11bafb, v58
	v_mul_f32_e32 v85, 0xbf4178ce, v82
	v_add_f32_e32 v3, v4, v3
	v_add_f32_e32 v81, v67, v63
	v_mov_b32_e32 v4, v85
	v_sub_f32_e32 v87, v64, v65
	v_fmac_f32_e32 v4, 0xbf27a4f4, v81
	v_mul_f32_e32 v88, 0xbe903f40, v87
	v_add_f32_e32 v3, v4, v3
	v_add_f32_e32 v86, v61, v62
	v_mov_b32_e32 v4, v88
	v_fmac_f32_e32 v4, 0xbf75a155, v86
	v_add_f32_e32 v3, v4, v3
	v_mul_f32_e32 v12, v11, v15
	v_mul_f32_e32 v90, 0x3ed4b147, v26
	;; [unrolled: 1-line block ×3, first 2 shown]
	v_fma_f32 v3, v3, v14, -v12
	v_mul_f32_e32 v89, 0xbf27a4f4, v25
	v_mov_b32_e32 v12, v90
	v_fmac_f32_e32 v4, v11, v14
	v_mov_b32_e32 v11, v89
	v_fmac_f32_e32 v12, 0x3f68dda4, v42
	v_fmac_f32_e32 v11, 0x3f4178ce, v40
	v_add_f32_e32 v12, v12, v2
	v_mul_f32_e32 v91, 0xbf75a155, v43
	v_add_f32_e32 v11, v11, v12
	v_mov_b32_e32 v12, v91
	v_fmac_f32_e32 v12, 0xbe903f40, v45
	v_mul_f32_e32 v92, 0xbe11bafb, v46
	v_add_f32_e32 v11, v12, v11
	v_mov_b32_e32 v12, v92
	v_fmac_f32_e32 v12, 0xbf7d64f0, v48
	;; [unrolled: 4-line block ×3, first 2 shown]
	v_mul_f32_e32 v95, 0xbf68dda4, v56
	v_add_f32_e32 v13, v12, v11
	v_mul_f32_e32 v94, 0xbf4178ce, v53
	v_mov_b32_e32 v12, v95
	v_mov_b32_e32 v11, v94
	v_fmac_f32_e32 v12, 0x3ed4b147, v55
	v_fmac_f32_e32 v11, 0xbf27a4f4, v52
	v_add_f32_e32 v12, v12, v1
	v_mul_f32_e32 v96, 0x3e903f40, v79
	v_add_f32_e32 v11, v11, v12
	v_mov_b32_e32 v12, v96
	v_fmac_f32_e32 v12, 0xbf75a155, v58
	v_mul_f32_e32 v97, 0x3f7d64f0, v82
	v_add_f32_e32 v11, v12, v11
	v_mov_b32_e32 v12, v97
	v_fmac_f32_e32 v12, 0xbe11bafb, v81
	;; [unrolled: 4-line block ×3, first 2 shown]
	v_add_f32_e32 v11, v12, v11
	v_mul_f32_e32 v14, v13, v17
	v_mul_f32_e32 v100, 0xbe11bafb, v26
	;; [unrolled: 1-line block ×3, first 2 shown]
	v_fma_f32 v11, v11, v16, -v14
	v_mul_f32_e32 v99, 0xbf75a155, v25
	v_mov_b32_e32 v14, v100
	v_fmac_f32_e32 v12, v13, v16
	v_mov_b32_e32 v13, v99
	v_fmac_f32_e32 v14, 0x3f7d64f0, v42
	v_fmac_f32_e32 v13, 0xbe903f40, v40
	v_add_f32_e32 v14, v14, v2
	v_add_f32_e32 v13, v13, v14
	v_mov_b32_e32 v14, v101
	v_fmac_f32_e32 v14, 0xbf68dda4, v45
	v_mul_f32_e32 v102, 0x3f575c64, v46
	v_add_f32_e32 v13, v14, v13
	v_mov_b32_e32 v14, v102
	v_fmac_f32_e32 v14, 0x3f0a6770, v48
	v_mul_f32_e32 v103, 0xbf27a4f4, v49
	;; [unrolled: 4-line block ×3, first 2 shown]
	v_add_f32_e32 v15, v14, v13
	v_mul_f32_e32 v104, 0x3e903f40, v53
	v_mov_b32_e32 v14, v105
	v_mov_b32_e32 v13, v104
	v_fmac_f32_e32 v14, 0xbe11bafb, v55
	v_fmac_f32_e32 v13, 0xbf75a155, v52
	v_add_f32_e32 v14, v14, v1
	v_mul_f32_e32 v106, 0x3f68dda4, v79
	v_add_f32_e32 v13, v13, v14
	v_mov_b32_e32 v14, v106
	v_fmac_f32_e32 v14, 0x3ed4b147, v58
	v_mul_f32_e32 v107, 0xbf0a6770, v82
	v_add_f32_e32 v13, v14, v13
	v_mov_b32_e32 v14, v107
	v_fmac_f32_e32 v14, 0x3f575c64, v81
	;; [unrolled: 4-line block ×3, first 2 shown]
	v_add_f32_e32 v13, v14, v13
	v_mul_f32_e32 v16, v15, v19
	v_mul_f32_e32 v110, 0xbf27a4f4, v26
	;; [unrolled: 1-line block ×3, first 2 shown]
	v_fma_f32 v13, v13, v18, -v16
	v_mul_f32_e32 v109, 0xbe11bafb, v25
	v_mov_b32_e32 v16, v110
	v_fmac_f32_e32 v14, v15, v18
	v_mov_b32_e32 v15, v109
	v_fmac_f32_e32 v16, 0x3f4178ce, v42
	v_fmac_f32_e32 v15, 0xbf7d64f0, v40
	v_add_f32_e32 v16, v16, v2
	v_add_f32_e32 v15, v15, v16
	v_mov_b32_e32 v16, v111
	v_fmac_f32_e32 v16, 0x3f0a6770, v45
	v_mul_f32_e32 v112, 0xbf75a155, v46
	v_add_f32_e32 v15, v16, v15
	v_mov_b32_e32 v16, v112
	v_fmac_f32_e32 v16, 0x3e903f40, v48
	v_mul_f32_e32 v113, 0x3ed4b147, v49
	;; [unrolled: 4-line block ×3, first 2 shown]
	v_add_f32_e32 v17, v16, v15
	v_mul_f32_e32 v114, 0x3f7d64f0, v53
	v_mov_b32_e32 v16, v115
	v_mov_b32_e32 v15, v114
	v_fmac_f32_e32 v16, 0xbf27a4f4, v55
	v_fmac_f32_e32 v15, 0xbe11bafb, v52
	v_add_f32_e32 v16, v16, v1
	v_mul_f32_e32 v116, 0xbf0a6770, v79
	v_add_f32_e32 v15, v15, v16
	v_mov_b32_e32 v16, v116
	v_fmac_f32_e32 v16, 0x3f575c64, v58
	v_mul_f32_e32 v117, 0xbe903f40, v82
	v_add_f32_e32 v15, v16, v15
	v_mov_b32_e32 v16, v117
	v_fmac_f32_e32 v16, 0xbf75a155, v81
	v_mul_f32_e32 v118, 0x3f68dda4, v87
	v_add_f32_e32 v15, v16, v15
	v_mov_b32_e32 v16, v118
	v_fmac_f32_e32 v16, 0x3ed4b147, v86
	v_add_f32_e32 v15, v16, v15
	v_mul_f32_e32 v18, v17, v23
	v_mul_f32_e32 v16, v15, v23
	v_fma_f32 v15, v15, v20, -v18
	v_fmac_f32_e32 v16, v17, v20
	v_mul_f32_e32 v20, 0xbf75a155, v26
	v_mul_f32_e32 v19, 0x3f575c64, v25
	v_mov_b32_e32 v18, v20
	v_mov_b32_e32 v17, v19
	v_fmac_f32_e32 v18, 0x3e903f40, v42
	v_fmac_f32_e32 v17, 0xbf0a6770, v40
	v_add_f32_e32 v18, v18, v2
	v_mul_f32_e32 v23, 0xbf27a4f4, v43
	v_add_f32_e32 v17, v17, v18
	v_mov_b32_e32 v18, v23
	v_fmac_f32_e32 v20, 0xbe903f40, v42
	v_fmac_f32_e32 v18, 0x3f4178ce, v45
	v_mul_f32_e32 v25, 0x3ed4b147, v46
	v_fmac_f32_e32 v19, 0x3f0a6770, v40
	v_add_f32_e32 v20, v20, v2
	v_add_f32_e32 v17, v18, v17
	v_mov_b32_e32 v18, v25
	v_add_f32_e32 v19, v19, v20
	v_fmac_f32_e32 v23, 0xbf4178ce, v45
	v_fmac_f32_e32 v18, 0xbf68dda4, v48
	v_mul_f32_e32 v26, 0xbe11bafb, v49
	v_mul_f32_e32 v49, 0xbe903f40, v56
	v_add_f32_e32 v19, v23, v19
	v_fmac_f32_e32 v25, 0x3f68dda4, v48
	v_add_f32_e32 v17, v18, v17
	v_mov_b32_e32 v18, v26
	v_mul_f32_e32 v46, 0x3f0a6770, v53
	v_add_f32_e32 v19, v25, v19
	v_fmac_f32_e32 v26, 0xbf7d64f0, v51
	v_fma_f32 v20, v55, s6, -v49
	v_mul_f32_e32 v53, 0xbf4178ce, v79
	v_add_f32_e32 v23, v26, v19
	v_fma_f32 v19, v52, s0, -v46
	v_add_f32_e32 v20, v20, v1
	v_mul_f32_e32 v56, 0x3f68dda4, v82
	v_add_f32_e32 v19, v19, v20
	v_fma_f32 v20, v58, s5, -v53
	v_mul_f32_e32 v79, 0xbf7d64f0, v87
	v_add_f32_e32 v19, v20, v19
	v_fma_f32 v20, v81, s1, -v56
	v_add_f32_e32 v19, v20, v19
	v_fma_f32 v20, v86, s4, -v79
	v_add_f32_e32 v19, v20, v19
	v_mul_f32_e32 v20, v19, v29
	v_fmac_f32_e32 v110, 0xbf4178ce, v42
	v_mul_f32_e32 v25, v23, v29
	v_fmac_f32_e32 v20, v23, v28
	v_fmac_f32_e32 v109, 0x3f7d64f0, v40
	v_add_f32_e32 v23, v110, v2
	v_add_f32_e32 v23, v109, v23
	v_fmac_f32_e32 v111, 0xbf0a6770, v45
	v_add_f32_e32 v23, v111, v23
	v_fmac_f32_e32 v112, 0xbe903f40, v48
	;; [unrolled: 2-line block ×3, first 2 shown]
	v_fma_f32 v26, v55, s5, -v115
	v_fma_f32 v19, v19, v28, -v25
	v_add_f32_e32 v25, v113, v23
	v_fma_f32 v23, v52, s4, -v114
	v_add_f32_e32 v26, v26, v1
	v_add_f32_e32 v23, v23, v26
	v_fma_f32 v26, v58, s0, -v116
	v_add_f32_e32 v23, v26, v23
	v_fma_f32 v26, v81, s6, -v117
	;; [unrolled: 2-line block ×3, first 2 shown]
	v_add_f32_e32 v23, v26, v23
	v_mul_f32_e32 v26, v25, v24
	v_mul_f32_e32 v24, v23, v24
	v_fmac_f32_e32 v100, 0xbf7d64f0, v42
	v_fmac_f32_e32 v24, v25, v35
	v_fmac_f32_e32 v99, 0x3e903f40, v40
	v_add_f32_e32 v25, v100, v2
	v_add_f32_e32 v25, v99, v25
	v_fmac_f32_e32 v101, 0x3f68dda4, v45
	v_add_f32_e32 v28, v101, v25
	v_lshlrev_b32_sdwa v25, v60, v30 dst_sel:DWORD dst_unused:UNUSED_PAD src0_sel:DWORD src1_sel:BYTE_1
	v_fma_f32 v23, v23, v35, -v26
	global_load_dwordx2 v[25:26], v25, s[16:17] offset:2048
	v_fmac_f32_e32 v18, 0x3f7d64f0, v51
	v_add_f32_e32 v43, v18, v17
	v_mov_b32_e32 v18, v49
	v_mov_b32_e32 v17, v46
	v_fmac_f32_e32 v18, 0xbf75a155, v55
	v_fmac_f32_e32 v17, 0x3f575c64, v52
	v_add_f32_e32 v18, v18, v1
	v_add_f32_e32 v17, v17, v18
	v_mov_b32_e32 v18, v53
	v_fmac_f32_e32 v102, 0xbf0a6770, v48
	v_fmac_f32_e32 v18, 0xbf27a4f4, v58
	v_add_f32_e32 v28, v102, v28
	v_fmac_f32_e32 v103, 0xbf4178ce, v51
	v_fma_f32 v30, v55, s4, -v105
	v_add_f32_e32 v17, v18, v17
	v_mov_b32_e32 v18, v56
	v_add_f32_e32 v29, v103, v28
	v_fma_f32 v28, v52, s6, -v104
	v_add_f32_e32 v30, v30, v1
	v_fmac_f32_e32 v18, 0x3ed4b147, v81
	v_add_f32_e32 v28, v28, v30
	v_fma_f32 v30, v58, s1, -v106
	v_add_f32_e32 v17, v18, v17
	v_mov_b32_e32 v18, v79
	v_add_f32_e32 v28, v30, v28
	v_fma_f32 v30, v81, s0, -v107
	v_fmac_f32_e32 v18, 0xbe11bafb, v86
	v_add_f32_e32 v28, v30, v28
	v_fma_f32 v30, v86, s5, -v108
	v_add_f32_e32 v17, v18, v17
	v_add_f32_e32 v30, v30, v28
	v_mul_f32_e32 v82, v43, v33
	v_mul_f32_e32 v18, v17, v33
	;; [unrolled: 1-line block ×3, first 2 shown]
	v_fmac_f32_e32 v90, 0xbf68dda4, v42
	v_fma_f32 v17, v17, v32, -v82
	v_fmac_f32_e32 v18, v43, v32
	v_mul_f32_e32 v32, v29, v27
	v_fmac_f32_e32 v28, v29, v36
	v_fmac_f32_e32 v89, 0xbf4178ce, v40
	v_add_f32_e32 v29, v90, v2
	v_add_f32_e32 v29, v89, v29
	v_fmac_f32_e32 v91, 0x3e903f40, v45
	v_add_f32_e32 v29, v91, v29
	v_fmac_f32_e32 v92, 0x3f7d64f0, v48
	v_fma_f32 v27, v30, v36, -v32
	v_add_f32_e32 v29, v92, v29
	v_fmac_f32_e32 v93, 0x3f0a6770, v51
	v_fma_f32 v30, v55, s1, -v95
	v_add_f32_e32 v32, v93, v29
	v_fma_f32 v29, v52, s5, -v94
	v_add_f32_e32 v30, v30, v1
	v_add_f32_e32 v29, v29, v30
	v_fma_f32 v30, v58, s6, -v96
	v_add_f32_e32 v29, v30, v29
	v_fma_f32 v30, v81, s4, -v97
	;; [unrolled: 2-line block ×3, first 2 shown]
	v_add_f32_e32 v29, v30, v29
	v_mul_f32_e32 v33, v32, v38
	v_mul_f32_e32 v30, v29, v38
	v_fma_f32 v38, v55, s0, -v57
	v_add_f32_e32 v38, v38, v1
	v_add_f32_e32 v1, v6, v1
	v_fmac_f32_e32 v41, 0xbf0a6770, v42
	v_add_f32_e32 v1, v1, v74
	v_fmac_f32_e32 v30, v32, v37
	v_add_f32_e32 v32, v41, v2
	v_add_f32_e32 v2, v78, v2
	;; [unrolled: 1-line block ×5, first 2 shown]
	v_fma_f32 v29, v29, v37, -v33
	v_fmac_f32_e32 v39, 0xbf68dda4, v40
	v_fma_f32 v37, v52, s1, -v54
	v_add_f32_e32 v2, v2, v72
	v_add_f32_e32 v1, v1, v61
	v_fmac_f32_e32 v44, 0xbf7d64f0, v45
	v_add_f32_e32 v32, v39, v32
	v_fma_f32 v36, v58, s4, -v80
	v_add_f32_e32 v37, v37, v38
	v_add_f32_e32 v2, v2, v69
	;; [unrolled: 1-line block ×3, first 2 shown]
	v_fmac_f32_e32 v47, 0xbf4178ce, v48
	v_add_f32_e32 v32, v44, v32
	v_fma_f32 v35, v81, s5, -v85
	v_add_f32_e32 v36, v36, v37
	v_add_f32_e32 v2, v2, v64
	;; [unrolled: 1-line block ×3, first 2 shown]
	v_fmac_f32_e32 v50, 0xbe903f40, v51
	v_add_f32_e32 v32, v47, v32
	v_add_f32_e32 v35, v35, v36
	v_mul_f32_e32 v36, v34, v84
	v_add_f32_e32 v2, v2, v65
	v_add_f32_e32 v1, v1, v68
	;; [unrolled: 1-line block ×3, first 2 shown]
	v_fma_f32 v32, v86, s6, -v88
	v_fma_f32 v36, v83, v31, -v36
	v_mul_f32_e32 v31, v31, v84
	v_add_f32_e32 v2, v2, v66
	v_add_f32_e32 v1, v1, v76
	s_movk_i32 s0, 0x21e
	v_add_f32_e32 v35, v32, v35
	v_fmac_f32_e32 v31, v83, v34
	v_add_f32_e32 v2, v2, v70
	v_add_f32_e32 v5, v1, v5
	v_mul_u32_u24_sdwa v1, v0, s0 dst_sel:DWORD dst_unused:UNUSED_PAD src0_sel:WORD_0 src1_sel:DWORD
	s_movk_i32 s0, 0x79
	v_mul_f32_e32 v32, v35, v31
	v_add_f32_e32 v2, v2, v75
	v_mul_lo_u16_sdwa v1, v1, s0 dst_sel:DWORD dst_unused:UNUSED_PAD src0_sel:WORD_1 src1_sel:DWORD
	v_fmac_f32_e32 v32, v33, v36
	v_mul_f32_e32 v31, v33, v31
	v_add_f32_e32 v33, v2, v77
	s_waitcnt vmcnt(0)
	v_mul_f32_e32 v2, v8, v26
	v_sub_u16_e32 v1, v0, v1
	v_fma_f32 v2, v7, v25, -v2
	v_mul_f32_e32 v7, v7, v26
	v_sub_u32_e32 v0, v0, v1
	v_fmac_f32_e32 v7, v8, v25
	v_add_u32_e32 v25, v0, v59
	v_mad_u64_u32 v[0:1], s[0:1], s8, v25, 0
	v_mul_f32_e32 v8, v7, v10
	v_mul_f32_e32 v10, v2, v10
	v_fma_f32 v8, v9, v2, -v8
	v_fmac_f32_e32 v10, v9, v7
	v_mad_u64_u32 v[1:2], s[0:1], s9, v25, v[1:2]
	v_mul_f32_e32 v6, v5, v10
	v_mul_f32_e32 v2, v33, v10
	s_lshl_b64 s[0:1], s[2:3], 3
	v_fmac_f32_e32 v6, v33, v8
	v_fma_f32 v5, v5, v8, -v2
	s_add_u32 s0, s12, s0
	v_lshlrev_b64 v[7:8], 3, v[21:22]
	s_addc_u32 s1, s13, s1
	v_mov_b32_e32 v2, s1
	v_add_co_u32_e32 v21, vcc, s0, v7
	v_add_u32_e32 v9, 11, v25
	v_addc_co_u32_e32 v22, vcc, v2, v8, vcc
	v_mad_u64_u32 v[7:8], s[0:1], s8, v9, 0
	v_add_u32_e32 v26, 22, v25
	v_lshlrev_b64 v[0:1], 3, v[0:1]
	v_mov_b32_e32 v2, v8
	v_mad_u64_u32 v[8:9], s[0:1], s9, v9, v[2:3]
	v_mad_u64_u32 v[9:10], s[0:1], s8, v26, 0
	v_add_co_u32_e32 v0, vcc, v21, v0
	v_addc_co_u32_e32 v1, vcc, v22, v1, vcc
	v_mov_b32_e32 v2, v10
	global_store_dwordx2 v[0:1], v[5:6], off
	v_mad_u64_u32 v[5:6], s[0:1], s9, v26, v[2:3]
	v_lshlrev_b64 v[0:1], 3, v[7:8]
	v_add_u32_e32 v7, 33, v25
	v_mov_b32_e32 v10, v5
	v_mad_u64_u32 v[5:6], s[0:1], s8, v7, 0
	v_add_co_u32_e32 v0, vcc, v21, v0
	v_fma_f32 v31, v35, v36, -v31
	v_addc_co_u32_e32 v1, vcc, v22, v1, vcc
	v_mov_b32_e32 v2, v6
	global_store_dwordx2 v[0:1], v[31:32], off
	v_lshlrev_b64 v[0:1], 3, v[9:10]
	v_mad_u64_u32 v[6:7], s[0:1], s9, v7, v[2:3]
	v_add_u32_e32 v9, 44, v25
	v_mad_u64_u32 v[7:8], s[0:1], s8, v9, 0
	v_add_co_u32_e32 v0, vcc, v21, v0
	v_addc_co_u32_e32 v1, vcc, v22, v1, vcc
	v_mov_b32_e32 v2, v8
	global_store_dwordx2 v[0:1], v[29:30], off
	v_lshlrev_b64 v[0:1], 3, v[5:6]
	v_mad_u64_u32 v[5:6], s[0:1], s9, v9, v[2:3]
	v_add_co_u32_e32 v0, vcc, v21, v0
	v_addc_co_u32_e32 v1, vcc, v22, v1, vcc
	v_mov_b32_e32 v8, v5
	global_store_dwordx2 v[0:1], v[27:28], off
	v_lshlrev_b64 v[0:1], 3, v[7:8]
	v_add_u32_e32 v7, 55, v25
	v_mad_u64_u32 v[5:6], s[0:1], s8, v7, 0
	v_add_u32_e32 v9, 0x42, v25
	v_add_co_u32_e32 v0, vcc, v21, v0
	v_mov_b32_e32 v2, v6
	v_mad_u64_u32 v[6:7], s[0:1], s9, v7, v[2:3]
	v_mad_u64_u32 v[7:8], s[0:1], s8, v9, 0
	v_addc_co_u32_e32 v1, vcc, v22, v1, vcc
	v_mov_b32_e32 v2, v8
	global_store_dwordx2 v[0:1], v[23:24], off
	v_lshlrev_b64 v[0:1], 3, v[5:6]
	v_mad_u64_u32 v[5:6], s[0:1], s9, v9, v[2:3]
	v_add_co_u32_e32 v0, vcc, v21, v0
	v_addc_co_u32_e32 v1, vcc, v22, v1, vcc
	v_mov_b32_e32 v8, v5
	global_store_dwordx2 v[0:1], v[19:20], off
	v_lshlrev_b64 v[0:1], 3, v[7:8]
	v_add_u32_e32 v7, 0x4d, v25
	v_mad_u64_u32 v[5:6], s[0:1], s8, v7, 0
	v_add_u32_e32 v9, 0x58, v25
	v_add_co_u32_e32 v0, vcc, v21, v0
	v_mov_b32_e32 v2, v6
	v_mad_u64_u32 v[6:7], s[0:1], s9, v7, v[2:3]
	v_mad_u64_u32 v[7:8], s[0:1], s8, v9, 0
	;; [unrolled: 17-line block ×3, first 2 shown]
	v_addc_co_u32_e32 v1, vcc, v22, v1, vcc
	v_mov_b32_e32 v2, v8
	global_store_dwordx2 v[0:1], v[13:14], off
	v_lshlrev_b64 v[0:1], 3, v[5:6]
	v_mad_u64_u32 v[5:6], s[0:1], s9, v9, v[2:3]
	v_add_co_u32_e32 v0, vcc, v21, v0
	v_addc_co_u32_e32 v1, vcc, v22, v1, vcc
	v_mov_b32_e32 v8, v5
	global_store_dwordx2 v[0:1], v[11:12], off
	v_lshlrev_b64 v[0:1], 3, v[7:8]
	v_add_co_u32_e32 v0, vcc, v21, v0
	v_addc_co_u32_e32 v1, vcc, v22, v1, vcc
	global_store_dwordx2 v[0:1], v[3:4], off
.LBB0_14:
	s_endpgm
	.section	.rodata,"a",@progbits
	.p2align	6, 0x0
	.amdhsa_kernel fft_rtc_fwd_len121_factors_11_11_wgs_121_tpt_11_sp_ip_CI_sbcc_twdbase8_3step_dirReg_intrinsicRead
		.amdhsa_group_segment_fixed_size 0
		.amdhsa_private_segment_fixed_size 0
		.amdhsa_kernarg_size 96
		.amdhsa_user_sgpr_count 6
		.amdhsa_user_sgpr_private_segment_buffer 1
		.amdhsa_user_sgpr_dispatch_ptr 0
		.amdhsa_user_sgpr_queue_ptr 0
		.amdhsa_user_sgpr_kernarg_segment_ptr 1
		.amdhsa_user_sgpr_dispatch_id 0
		.amdhsa_user_sgpr_flat_scratch_init 0
		.amdhsa_user_sgpr_private_segment_size 0
		.amdhsa_uses_dynamic_stack 0
		.amdhsa_system_sgpr_private_segment_wavefront_offset 0
		.amdhsa_system_sgpr_workgroup_id_x 1
		.amdhsa_system_sgpr_workgroup_id_y 0
		.amdhsa_system_sgpr_workgroup_id_z 0
		.amdhsa_system_sgpr_workgroup_info 0
		.amdhsa_system_vgpr_workitem_id 0
		.amdhsa_next_free_vgpr 119
		.amdhsa_next_free_sgpr 45
		.amdhsa_reserve_vcc 1
		.amdhsa_reserve_flat_scratch 0
		.amdhsa_float_round_mode_32 0
		.amdhsa_float_round_mode_16_64 0
		.amdhsa_float_denorm_mode_32 3
		.amdhsa_float_denorm_mode_16_64 3
		.amdhsa_dx10_clamp 1
		.amdhsa_ieee_mode 1
		.amdhsa_fp16_overflow 0
		.amdhsa_exception_fp_ieee_invalid_op 0
		.amdhsa_exception_fp_denorm_src 0
		.amdhsa_exception_fp_ieee_div_zero 0
		.amdhsa_exception_fp_ieee_overflow 0
		.amdhsa_exception_fp_ieee_underflow 0
		.amdhsa_exception_fp_ieee_inexact 0
		.amdhsa_exception_int_div_zero 0
	.end_amdhsa_kernel
	.text
.Lfunc_end0:
	.size	fft_rtc_fwd_len121_factors_11_11_wgs_121_tpt_11_sp_ip_CI_sbcc_twdbase8_3step_dirReg_intrinsicRead, .Lfunc_end0-fft_rtc_fwd_len121_factors_11_11_wgs_121_tpt_11_sp_ip_CI_sbcc_twdbase8_3step_dirReg_intrinsicRead
                                        ; -- End function
	.section	.AMDGPU.csdata,"",@progbits
; Kernel info:
; codeLenInByte = 8500
; NumSgprs: 49
; NumVgprs: 119
; ScratchSize: 0
; MemoryBound: 0
; FloatMode: 240
; IeeeMode: 1
; LDSByteSize: 0 bytes/workgroup (compile time only)
; SGPRBlocks: 6
; VGPRBlocks: 29
; NumSGPRsForWavesPerEU: 49
; NumVGPRsForWavesPerEU: 119
; Occupancy: 2
; WaveLimiterHint : 1
; COMPUTE_PGM_RSRC2:SCRATCH_EN: 0
; COMPUTE_PGM_RSRC2:USER_SGPR: 6
; COMPUTE_PGM_RSRC2:TRAP_HANDLER: 0
; COMPUTE_PGM_RSRC2:TGID_X_EN: 1
; COMPUTE_PGM_RSRC2:TGID_Y_EN: 0
; COMPUTE_PGM_RSRC2:TGID_Z_EN: 0
; COMPUTE_PGM_RSRC2:TIDIG_COMP_CNT: 0
	.type	__hip_cuid_29f4529b9e01029d,@object ; @__hip_cuid_29f4529b9e01029d
	.section	.bss,"aw",@nobits
	.globl	__hip_cuid_29f4529b9e01029d
__hip_cuid_29f4529b9e01029d:
	.byte	0                               ; 0x0
	.size	__hip_cuid_29f4529b9e01029d, 1

	.ident	"AMD clang version 19.0.0git (https://github.com/RadeonOpenCompute/llvm-project roc-6.4.0 25133 c7fe45cf4b819c5991fe208aaa96edf142730f1d)"
	.section	".note.GNU-stack","",@progbits
	.addrsig
	.addrsig_sym __hip_cuid_29f4529b9e01029d
	.amdgpu_metadata
---
amdhsa.kernels:
  - .args:
      - .actual_access:  read_only
        .address_space:  global
        .offset:         0
        .size:           8
        .value_kind:     global_buffer
      - .address_space:  global
        .offset:         8
        .size:           8
        .value_kind:     global_buffer
      - .offset:         16
        .size:           8
        .value_kind:     by_value
      - .actual_access:  read_only
        .address_space:  global
        .offset:         24
        .size:           8
        .value_kind:     global_buffer
      - .actual_access:  read_only
        .address_space:  global
        .offset:         32
        .size:           8
        .value_kind:     global_buffer
      - .offset:         40
        .size:           8
        .value_kind:     by_value
      - .actual_access:  read_only
        .address_space:  global
        .offset:         48
        .size:           8
        .value_kind:     global_buffer
      - .actual_access:  read_only
        .address_space:  global
        .offset:         56
        .size:           8
        .value_kind:     global_buffer
      - .offset:         64
        .size:           4
        .value_kind:     by_value
      - .actual_access:  read_only
        .address_space:  global
        .offset:         72
        .size:           8
        .value_kind:     global_buffer
      - .actual_access:  read_only
        .address_space:  global
        .offset:         80
        .size:           8
        .value_kind:     global_buffer
      - .address_space:  global
        .offset:         88
        .size:           8
        .value_kind:     global_buffer
    .group_segment_fixed_size: 0
    .kernarg_segment_align: 8
    .kernarg_segment_size: 96
    .language:       OpenCL C
    .language_version:
      - 2
      - 0
    .max_flat_workgroup_size: 121
    .name:           fft_rtc_fwd_len121_factors_11_11_wgs_121_tpt_11_sp_ip_CI_sbcc_twdbase8_3step_dirReg_intrinsicRead
    .private_segment_fixed_size: 0
    .sgpr_count:     49
    .sgpr_spill_count: 0
    .symbol:         fft_rtc_fwd_len121_factors_11_11_wgs_121_tpt_11_sp_ip_CI_sbcc_twdbase8_3step_dirReg_intrinsicRead.kd
    .uniform_work_group_size: 1
    .uses_dynamic_stack: false
    .vgpr_count:     119
    .vgpr_spill_count: 0
    .wavefront_size: 64
amdhsa.target:   amdgcn-amd-amdhsa--gfx906
amdhsa.version:
  - 1
  - 2
...

	.end_amdgpu_metadata
